;; amdgpu-corpus repo=zjin-lcf/HeCBench kind=compiled arch=gfx906 opt=O3
	.amdgcn_target "amdgcn-amd-amdhsa--gfx906"
	.amdhsa_code_object_version 6
	.text
	.protected	_Z8svd3_SOAPKfPfi       ; -- Begin function _Z8svd3_SOAPKfPfi
	.globl	_Z8svd3_SOAPKfPfi
	.p2align	8
	.type	_Z8svd3_SOAPKfPfi,@function
_Z8svd3_SOAPKfPfi:                      ; @_Z8svd3_SOAPKfPfi
; %bb.0:
	s_mov_b64 s[14:15], s[2:3]
	s_mov_b64 s[12:13], s[0:1]
	s_load_dword s0, s[4:5], 0x24
	s_load_dword s8, s[4:5], 0x10
	s_add_u32 s12, s12, s7
	s_addc_u32 s13, s13, 0
	s_waitcnt lgkmcnt(0)
	s_and_b32 s0, s0, 0xffff
	s_mul_i32 s6, s6, s0
	v_add_u32_e32 v0, s6, v0
	v_cmp_gt_i32_e32 vcc, s8, v0
	s_and_saveexec_b64 s[0:1], vcc
	s_cbranch_execz .LBB0_4
; %bb.1:
	s_load_dwordx4 s[0:3], s[4:5], 0x0
	v_ashrrev_i32_e32 v1, 31, v0
	v_lshlrev_b64 v[8:9], 2, v[0:1]
	s_ashr_i32 s9, s8, 31
	s_lshl_b64 s[4:5], s[8:9], 2
	s_waitcnt lgkmcnt(0)
	v_mov_b32_e32 v1, s1
	v_add_co_u32_e32 v16, vcc, s0, v8
	v_addc_co_u32_e32 v17, vcc, v1, v9, vcc
	v_add_u32_e32 v0, s8, v0
	v_mov_b32_e32 v1, s5
	v_add_co_u32_e32 v18, vcc, s4, v16
	v_addc_co_u32_e32 v19, vcc, v17, v1, vcc
	v_add_u32_e32 v1, s8, v0
	v_ashrrev_i32_e32 v2, 31, v1
	v_lshlrev_b64 v[10:11], 2, v[1:2]
	v_mov_b32_e32 v2, s1
	v_add_co_u32_e32 v20, vcc, s0, v10
	v_add_u32_e32 v1, s8, v1
	v_addc_co_u32_e32 v21, vcc, v2, v11, vcc
	v_ashrrev_i32_e32 v2, 31, v1
	v_lshlrev_b64 v[2:3], 2, v[1:2]
	v_mov_b32_e32 v4, s1
	v_add_co_u32_e32 v22, vcc, s0, v2
	v_addc_co_u32_e32 v23, vcc, v4, v3, vcc
	v_add_u32_e32 v4, s8, v1
	v_ashrrev_i32_e32 v5, 31, v4
	v_lshlrev_b64 v[12:13], 2, v[4:5]
	v_add_u32_e32 v6, s8, v4
	v_ashrrev_i32_e32 v7, 31, v6
	v_mov_b32_e32 v1, s1
	v_add_co_u32_e32 v24, vcc, s0, v12
	v_lshlrev_b64 v[4:5], 2, v[6:7]
	v_add_u32_e32 v6, s8, v6
	v_addc_co_u32_e32 v25, vcc, v1, v13, vcc
	v_ashrrev_i32_e32 v7, 31, v6
	v_add_co_u32_e32 v26, vcc, s0, v4
	v_lshlrev_b64 v[14:15], 2, v[6:7]
	v_add_u32_e32 v30, s8, v6
	v_addc_co_u32_e32 v27, vcc, v1, v5, vcc
	v_ashrrev_i32_e32 v31, 31, v30
	v_add_co_u32_e32 v28, vcc, s0, v14
	v_lshlrev_b64 v[6:7], 2, v[30:31]
	v_addc_co_u32_e32 v29, vcc, v1, v15, vcc
	v_add_co_u32_e32 v31, vcc, s0, v6
	v_addc_co_u32_e32 v32, vcc, v1, v7, vcc
	global_load_dword v58, v[16:17], off
	global_load_dword v49, v[18:19], off
	;; [unrolled: 1-line block ×4, first 2 shown]
                                        ; kill: killed $vgpr20 killed $vgpr21
                                        ; kill: killed $vgpr22 killed $vgpr23
	global_load_dword v51, v[24:25], off
	global_load_dword v53, v[26:27], off
	;; [unrolled: 1-line block ×4, first 2 shown]
	v_add_u32_e32 v18, s8, v30
	v_ashrrev_i32_e32 v19, 31, v18
	v_lshlrev_b64 v[16:17], 2, v[18:19]
	s_mov_b32 s4, 4
	v_add_co_u32_e32 v19, vcc, s0, v16
	v_addc_co_u32_e32 v20, vcc, v1, v17, vcc
	global_load_dword v61, v[19:20], off
	s_mov_b32 s5, 0x1e3ce508
	s_mov_b32 s6, 0xf800000
	v_mov_b32_e32 v45, 1.0
	v_mov_b32_e32 v42, 0
	v_mov_b32_e32 v1, 0x260
	;; [unrolled: 1-line block ×6, first 2 shown]
	s_waitcnt vmcnt(5)
	v_mul_f32_e32 v23, v55, v55
	v_fmac_f32_e32 v23, v58, v58
	s_waitcnt vmcnt(4)
	v_mul_f32_e32 v21, v55, v51
	v_mul_f32_e32 v22, v51, v51
	s_waitcnt vmcnt(3)
	v_mul_f32_e32 v26, v55, v53
	v_mul_f32_e32 v24, v51, v53
	;; [unrolled: 1-line block ×3, first 2 shown]
	v_fmac_f32_e32 v21, v58, v49
	v_fmac_f32_e32 v22, v49, v49
	;; [unrolled: 1-line block ×5, first 2 shown]
	s_waitcnt vmcnt(2)
	v_fmac_f32_e32 v23, v52, v52
	s_waitcnt vmcnt(1)
	v_fmac_f32_e32 v21, v52, v54
	v_fmac_f32_e32 v22, v54, v54
	s_waitcnt vmcnt(0)
	v_fmac_f32_e32 v26, v52, v61
	v_fmac_f32_e32 v24, v54, v61
	v_fmac_f32_e32 v25, v61, v61
.LBB0_2:                                ; =>This Inner Loop Header: Depth=1
	v_mul_f32_e32 v27, 0.5, v21
	v_mul_f32_e32 v28, v27, v27
	v_sub_f32_e32 v29, v23, v22
	v_cmp_nle_f32_e32 vcc, s5, v28
	v_cndmask_b32_e64 v28, v29, 1.0, vcc
	v_cndmask_b32_e64 v27, v27, 0, vcc
	v_mul_f32_e32 v30, v28, v28
	v_fma_f32 v31, v27, v27, v30
	v_mul_f32_e32 v32, 0x4f800000, v31
	v_cmp_gt_f32_e32 vcc, s6, v31
	v_cndmask_b32_e32 v31, v31, v32, vcc
	v_sqrt_f32_e32 v32, v31
	s_add_i32 s4, s4, -1
	s_cmp_lg_u32 s4, 0
	v_add_u32_e32 v33, -1, v32
	v_fma_f32 v34, -v33, v32, v31
	v_cmp_ge_f32_e64 s[0:1], 0, v34
	v_add_u32_e32 v34, 1, v32
	v_cndmask_b32_e64 v33, v32, v33, s[0:1]
	v_fma_f32 v32, -v34, v32, v31
	v_cmp_lt_f32_e64 s[0:1], 0, v32
	v_cndmask_b32_e64 v32, v33, v34, s[0:1]
	v_mul_f32_e32 v33, 0x37800000, v32
	v_cndmask_b32_e32 v32, v32, v33, vcc
	v_cmp_class_f32_e32 vcc, v31, v1
	v_cndmask_b32_e32 v31, v32, v31, vcc
	v_div_scale_f32 v32, s[0:1], v31, v31, 1.0
	v_div_scale_f32 v33, vcc, 1.0, v31, 1.0
	v_rcp_f32_e32 v34, v32
	v_fma_f32 v35, -v32, v34, 1.0
	v_fmac_f32_e32 v34, v35, v34
	v_mul_f32_e32 v35, v33, v34
	v_fma_f32 v36, -v32, v35, v33
	v_fmac_f32_e32 v35, v36, v34
	v_fma_f32 v32, -v32, v35, v33
	v_div_fmas_f32 v32, v32, v34, v35
	v_mul_f32_e32 v34, v27, v27
	v_mul_f32_e32 v34, 0x40ba827a, v34
	v_cmp_nle_f32_e32 vcc, v30, v34
	v_add_f32_e32 v33, v21, v21
	v_div_fixup_f32 v31, v32, v31, 1.0
	v_mul_f32_e32 v27, v27, v31
	v_mul_f32_e32 v31, v28, v31
	v_cndmask_b32_e32 v28, v19, v27, vcc
	v_cndmask_b32_e32 v27, v20, v31, vcc
	v_mul_f32_e32 v30, v27, v27
	v_mul_f32_e32 v31, v27, v28
	v_fma_f32 v32, -v28, v28, v30
	v_fmac_f32_e32 v30, v28, v28
	v_add_f32_e32 v31, v31, v31
	v_mul_f32_e32 v35, v26, v30
	v_mul_f32_e32 v36, v24, v30
	;; [unrolled: 1-line block ×7, first 2 shown]
	v_fma_f32 v24, v32, v36, -v24
	v_mul_f32_e32 v39, v32, v31
	v_fmac_f32_e32 v25, v22, v38
	v_mul_f32_e32 v40, 0.5, v24
	v_fma_f32 v25, -v33, v39, v25
	v_mul_f32_e32 v41, v40, v40
	v_fma_f32 v26, -v30, v34, v25
	v_cmp_nle_f32_e32 vcc, s5, v41
	v_cndmask_b32_e64 v41, v26, 1.0, vcc
	v_cndmask_b32_e64 v40, v40, 0, vcc
	v_mul_f32_e32 v43, v41, v41
	v_fma_f32 v47, v40, v40, v43
	v_mul_f32_e32 v48, 0x4f800000, v47
	v_cmp_gt_f32_e32 vcc, s6, v47
	v_cndmask_b32_e32 v47, v47, v48, vcc
	v_sqrt_f32_e32 v48, v47
	v_mul_f32_e32 v22, v22, v37
	v_mul_f32_e32 v30, v30, v34
	;; [unrolled: 1-line block ×3, first 2 shown]
	v_add_u32_e32 v56, -1, v48
	v_add_u32_e32 v57, 1, v48
	v_fma_f32 v59, -v56, v48, v47
	v_fma_f32 v60, -v57, v48, v47
	v_cmp_ge_f32_e64 s[0:1], 0, v59
	v_cndmask_b32_e64 v48, v48, v56, s[0:1]
	v_cmp_lt_f32_e64 s[0:1], 0, v60
	v_cndmask_b32_e64 v48, v48, v57, s[0:1]
	v_mul_f32_e32 v56, 0x37800000, v48
	v_cndmask_b32_e32 v48, v48, v56, vcc
	v_cmp_class_f32_e32 vcc, v47, v1
	v_cndmask_b32_e32 v47, v48, v47, vcc
	v_div_scale_f32 v48, s[0:1], v47, v47, 1.0
	v_div_scale_f32 v56, vcc, 1.0, v47, 1.0
	v_fma_f32 v32, v32, v32, -v37
	v_mul_f32_e32 v29, v29, v39
	v_fmac_f32_e32 v22, v23, v38
	v_mul_f32_e32 v23, v40, v40
	v_fma_f32 v21, v21, v32, -v29
	v_mul_f32_e32 v23, 0x40ba827a, v23
	v_fmac_f32_e32 v22, v33, v39
	v_fmac_f32_e32 v34, v31, v36
	v_add_f32_e32 v31, v24, v24
	v_rcp_f32_e32 v57, v48
	v_fma_f32 v59, -v48, v57, 1.0
	v_fmac_f32_e32 v57, v59, v57
	v_mul_f32_e32 v59, v56, v57
	v_fma_f32 v60, -v48, v59, v56
	v_fmac_f32_e32 v59, v60, v57
	v_fma_f32 v48, -v48, v59, v56
	v_div_fmas_f32 v48, v48, v57, v59
	v_cmp_nle_f32_e32 vcc, v43, v23
	v_div_fixup_f32 v29, v48, v47, 1.0
	v_mul_f32_e32 v32, v40, v29
	v_mul_f32_e32 v29, v41, v29
	v_cndmask_b32_e32 v33, v20, v29, vcc
	v_cndmask_b32_e32 v32, v19, v32, vcc
	v_mul_f32_e32 v35, v33, v33
	v_mul_f32_e32 v23, v33, v32
	v_fma_f32 v36, -v32, v32, v35
	v_fmac_f32_e32 v35, v32, v32
	v_add_f32_e32 v37, v23, v23
	v_mul_f32_e32 v21, v21, v35
	v_mul_f32_e32 v34, v34, v35
	v_mul_f32_e32 v38, v37, v37
	v_mul_f32_e32 v23, v37, v21
	v_mul_f32_e32 v39, v36, v36
	v_mul_f32_e32 v29, v25, v38
	v_fma_f32 v23, v36, v34, -v23
	v_mul_f32_e32 v40, v36, v37
	v_fmac_f32_e32 v29, v30, v39
	v_mul_f32_e32 v41, 0.5, v23
	v_mul_f32_e32 v22, v22, v35
	v_fma_f32 v29, -v31, v40, v29
	v_mul_f32_e32 v47, v41, v41
	v_fma_f32 v43, -v35, v22, v29
	v_cmp_nle_f32_e32 vcc, s5, v47
	v_cndmask_b32_e64 v47, v43, 1.0, vcc
	v_cndmask_b32_e64 v41, v41, 0, vcc
	v_mul_f32_e32 v48, v47, v47
	v_fma_f32 v56, v41, v41, v48
	v_mul_f32_e32 v57, 0x4f800000, v56
	v_cmp_gt_f32_e32 vcc, s6, v56
	v_cndmask_b32_e32 v56, v56, v57, vcc
	v_sqrt_f32_e32 v57, v56
	v_mul_f32_e32 v26, v26, v40
	v_mul_f32_e32 v21, v36, v21
	v_fmac_f32_e32 v21, v37, v34
	v_add_u32_e32 v59, -1, v57
	v_add_u32_e32 v60, 1, v57
	v_fma_f32 v62, -v59, v57, v56
	v_cmp_ge_f32_e64 s[0:1], 0, v62
	v_fma_f32 v62, -v60, v57, v56
	v_cndmask_b32_e64 v57, v57, v59, s[0:1]
	v_cmp_lt_f32_e64 s[0:1], 0, v62
	v_cndmask_b32_e64 v57, v57, v60, s[0:1]
	v_mul_f32_e32 v59, 0x37800000, v57
	v_cndmask_b32_e32 v57, v57, v59, vcc
	v_cmp_class_f32_e32 vcc, v56, v1
	v_cndmask_b32_e32 v56, v57, v56, vcc
	v_div_scale_f32 v57, s[0:1], v56, v56, 1.0
	v_div_scale_f32 v59, vcc, 1.0, v56, 1.0
	v_mul_f32_e32 v62, v45, v28
	v_fmac_f32_e32 v62, v42, v27
	v_mul_f32_e32 v42, v42, v28
	v_fma_f32 v42, v45, v27, -v42
	v_mul_f32_e32 v60, v46, v28
	v_mul_f32_e32 v28, v44, v28
	v_fmac_f32_e32 v28, v46, v27
	v_fma_f32 v27, v44, v27, -v60
	v_mul_f32_e32 v44, v28, v32
	v_rcp_f32_e32 v45, v57
	v_fma_f32 v46, -v57, v45, 1.0
	v_fmac_f32_e32 v45, v46, v45
	v_mul_f32_e32 v46, v59, v45
	v_fma_f32 v60, -v57, v46, v59
	v_fmac_f32_e32 v46, v60, v45
	v_fma_f32 v57, -v57, v46, v59
	v_div_fmas_f32 v45, v57, v45, v46
	v_mul_f32_e32 v60, v27, v32
	v_mul_f32_e32 v59, v62, v32
	;; [unrolled: 1-line block ×3, first 2 shown]
	v_fmac_f32_e32 v32, v28, v33
	v_fma_f32 v28, v42, v33, -v44
	v_fmac_f32_e32 v59, v27, v33
	v_fma_f32 v27, v62, v33, -v60
	v_mul_f32_e32 v33, v35, v22
	v_mul_f32_e32 v22, v30, v38
	v_fma_f32 v30, v36, v36, -v38
	v_fmac_f32_e32 v22, v25, v39
	v_mul_f32_e32 v25, v41, v41
	v_fma_f32 v24, v24, v30, -v26
	v_mul_f32_e32 v25, 0x40ba827a, v25
	v_cmp_nle_f32_e32 vcc, v48, v25
	v_div_fixup_f32 v26, v45, v56, 1.0
	v_mul_f32_e32 v30, v41, v26
	v_mul_f32_e32 v26, v47, v26
	v_fmac_f32_e32 v22, v31, v40
	v_cndmask_b32_e32 v31, v20, v26, vcc
	v_cndmask_b32_e32 v30, v19, v30, vcc
	v_mul_f32_e32 v25, v31, v31
	v_fma_f32 v26, -v30, v30, v25
	v_mul_f32_e32 v34, v31, v30
	v_fmac_f32_e32 v25, v30, v30
	v_add_f32_e32 v34, v34, v34
	v_mul_f32_e32 v22, v22, v25
	v_mul_f32_e32 v24, v24, v25
	v_mul_f32_e32 v21, v21, v25
	v_mul_f32_e32 v22, v25, v22
	v_mul_f32_e32 v25, v34, v24
	v_mul_f32_e32 v24, v26, v24
	v_mul_f32_e32 v35, v34, v34
	v_fmac_f32_e32 v24, v34, v21
	v_fma_f32 v21, v26, v21, -v25
	v_mul_f32_e32 v25, v33, v35
	v_mul_f32_e32 v36, v29, v35
	;; [unrolled: 1-line block ×4, first 2 shown]
	v_fmac_f32_e32 v25, v29, v37
	v_fmac_f32_e32 v36, v33, v37
	v_fma_f32 v29, v26, v26, -v35
	v_add_f32_e32 v33, v23, v23
	v_mul_f32_e32 v26, v43, v34
	v_fmac_f32_e32 v25, v33, v34
	v_fma_f32 v26, v23, v29, -v26
	v_fma_f32 v23, -v33, v34, v36
	v_mul_f32_e32 v42, v32, v30
	v_mul_f32_e32 v29, v59, v30
	;; [unrolled: 1-line block ×4, first 2 shown]
	v_fmac_f32_e32 v44, v59, v31
	v_fma_f32 v45, v28, v31, -v29
	v_fmac_f32_e32 v42, v27, v31
	v_fma_f32 v46, v32, v31, -v33
	s_cbranch_scc1 .LBB0_2
; %bb.3:
	v_ashrrev_i32_e32 v1, 31, v0
	v_lshlrev_b64 v[0:1], 2, v[0:1]
	v_mov_b32_e32 v19, s3
	v_add_co_u32_e32 v0, vcc, s2, v0
	v_addc_co_u32_e32 v1, vcc, v19, v1, vcc
	buffer_store_dword v0, off, s[12:15], 0 ; 4-byte Folded Spill
	s_nop 0
	buffer_store_dword v1, off, s[12:15], 0 offset:4 ; 4-byte Folded Spill
	v_mov_b32_e32 v0, s3
	v_add_co_u32_e32 v1, vcc, s2, v2
	v_addc_co_u32_e32 v2, vcc, v0, v3, vcc
	buffer_store_dword v1, off, s[12:15], 0 offset:8 ; 4-byte Folded Spill
	s_nop 0
	buffer_store_dword v2, off, s[12:15], 0 offset:12 ; 4-byte Folded Spill
	v_add_co_u32_e32 v1, vcc, s2, v4
	v_addc_co_u32_e32 v2, vcc, v0, v5, vcc
	v_add_co_u32_e32 v6, vcc, s2, v6
	v_addc_co_u32_e32 v7, vcc, v0, v7, vcc
	v_add_u32_e32 v0, s8, v18
	v_mov_b32_e32 v18, s3
	v_add_co_u32_e32 v8, vcc, s2, v8
	v_addc_co_u32_e32 v9, vcc, v18, v9, vcc
	v_add_co_u32_e32 v10, vcc, s2, v10
	v_addc_co_u32_e32 v11, vcc, v18, v11, vcc
	;; [unrolled: 2-line block ×3, first 2 shown]
	buffer_store_dword v1, off, s[12:15], 0 offset:16 ; 4-byte Folded Spill
	s_nop 0
	buffer_store_dword v2, off, s[12:15], 0 offset:20 ; 4-byte Folded Spill
	v_add_co_u32_e32 v14, vcc, s2, v14
	v_ashrrev_i32_e32 v1, 31, v0
	v_addc_co_u32_e32 v15, vcc, v18, v15, vcc
	v_add_u32_e32 v2, s8, v0
	v_add_co_u32_e32 v16, vcc, s2, v16
	v_lshlrev_b64 v[0:1], 2, v[0:1]
	v_addc_co_u32_e32 v17, vcc, v18, v17, vcc
	v_ashrrev_i32_e32 v3, 31, v2
	v_add_co_u32_e32 v18, vcc, s2, v0
	v_addc_co_u32_e32 v19, vcc, v19, v1, vcc
	v_lshlrev_b64 v[0:1], 2, v[2:3]
	v_add_u32_e32 v22, s8, v2
	v_ashrrev_i32_e32 v23, 31, v22
	v_mov_b32_e32 v2, s3
	v_add_co_u32_e32 v20, vcc, s2, v0
	v_addc_co_u32_e32 v21, vcc, v2, v1, vcc
	v_lshlrev_b64 v[0:1], 2, v[22:23]
	v_add_u32_e32 v24, s8, v22
	v_ashrrev_i32_e32 v25, 31, v24
	v_add_co_u32_e32 v22, vcc, s2, v0
	v_addc_co_u32_e32 v23, vcc, v2, v1, vcc
	v_lshlrev_b64 v[0:1], 2, v[24:25]
	v_add_u32_e32 v26, s8, v24
	v_ashrrev_i32_e32 v27, 31, v26
	;; [unrolled: 5-line block ×6, first 2 shown]
	v_add_co_u32_e32 v24, vcc, s2, v0
	v_addc_co_u32_e32 v25, vcc, v2, v1, vcc
	v_lshlrev_b64 v[0:1], 2, v[28:29]
	v_mov_b32_e32 v3, s3
	v_add_co_u32_e32 v26, vcc, s2, v0
	v_add_u32_e32 v0, s8, v28
	v_addc_co_u32_e32 v27, vcc, v2, v1, vcc
	v_ashrrev_i32_e32 v1, 31, v0
	v_lshlrev_b64 v[1:2], 2, v[0:1]
	v_add_u32_e32 v0, s8, v0
	v_add_co_u32_e32 v28, vcc, s2, v1
	v_ashrrev_i32_e32 v1, 31, v0
	v_addc_co_u32_e32 v29, vcc, v3, v2, vcc
	v_lshlrev_b64 v[1:2], 2, v[0:1]
	v_add_u32_e32 v0, s8, v0
	v_add_co_u32_e32 v30, vcc, s2, v1
	v_ashrrev_i32_e32 v1, 31, v0
	v_lshlrev_b64 v[0:1], 2, v[0:1]
	v_addc_co_u32_e32 v31, vcc, v3, v2, vcc
	v_add_co_u32_e32 v32, vcc, s2, v0
	v_mul_f32_e32 v0, v46, v46
	v_fmac_f32_e32 v0, v45, v45
	v_mov_b32_e32 v2, s3
	v_fmac_f32_e32 v0, v44, v44
	v_addc_co_u32_e32 v33, vcc, v2, v1, vcc
	v_fmac_f32_e32 v0, v42, v42
	s_mov_b32 s8, 0xf800000
	v_mul_f32_e32 v1, 0x4f800000, v0
	v_cmp_gt_f32_e32 vcc, s8, v0
	v_cndmask_b32_e32 v1, v0, v1, vcc
	v_sqrt_f32_e32 v2, v1
	s_mov_b32 s9, 0x2b8cbccc
	v_add_u32_e32 v3, -1, v2
	v_fma_f32 v43, -v3, v2, v1
	v_cmp_ge_f32_e64 s[0:1], 0, v43
	v_add_u32_e32 v43, 1, v2
	v_cndmask_b32_e64 v3, v2, v3, s[0:1]
	v_fma_f32 v2, -v43, v2, v1
	v_cmp_lt_f32_e64 s[0:1], 0, v2
	v_cndmask_b32_e64 v2, v3, v43, s[0:1]
	v_mul_f32_e32 v3, 0x37800000, v2
	v_mov_b32_e32 v43, 0x260
	v_cndmask_b32_e32 v2, v2, v3, vcc
	v_cmp_class_f32_e32 vcc, v1, v43
	v_cndmask_b32_e32 v1, v2, v1, vcc
	v_div_scale_f32 v2, s[0:1], v1, v1, 1.0
	v_rcp_f32_e32 v3, v2
	v_fma_f32 v47, -v2, v3, 1.0
	v_fmac_f32_e32 v3, v47, v3
	v_div_scale_f32 v47, vcc, 1.0, v1, 1.0
	v_mul_f32_e32 v48, v47, v3
	v_fma_f32 v56, -v2, v48, v47
	v_fmac_f32_e32 v48, v56, v3
	v_fma_f32 v2, -v2, v48, v47
	v_div_fmas_f32 v2, v2, v3, v48
	v_div_fixup_f32 v1, v2, v1, 1.0
	v_mul_f32_e32 v2, 0.5, v1
	v_mul_f32_e32 v2, v1, v2
	v_mul_f32_e32 v2, v1, v2
	v_fmac_f32_e32 v1, 0.5, v1
	v_fma_f32 v0, -v0, v2, v1
	v_mul_f32_e32 v2, v46, v0
	v_mul_f32_e32 v3, v44, v0
	;; [unrolled: 1-line block ×5, first 2 shown]
	v_add_f32_e32 v57, v3, v3
	v_fma_f32 v47, v1, v1, -v44
	v_fmac_f32_e32 v44, v1, v1
	v_add_f32_e32 v45, v0, v0
	v_mul_f32_e32 v59, v1, v57
	v_fma_f32 v48, -v3, v3, v44
	v_fma_f32 v44, v2, v45, -v59
	v_fmac_f32_e32 v59, v2, v45
	v_add_f32_e32 v2, v2, v2
	v_fma_f32 v42, -v3, v3, v47
	v_fmac_f32_e32 v47, v3, v3
	v_mul_f32_e32 v46, v1, v2
	v_mul_f32_e32 v56, v1, v45
	v_fma_f32 v45, v0, v57, -v46
	v_fmac_f32_e32 v46, v0, v57
	v_fmac_f32_e32 v42, v0, v0
	v_fma_f32 v47, -v0, v0, v47
	v_fma_f32 v0, -v0, v0, v48
	v_fma_f32 v60, v3, v2, -v56
	v_fmac_f32_e32 v56, v3, v2
	v_mul_f32_e32 v57, v58, v0
	v_fmac_f32_e32 v57, v49, v56
	v_mul_f32_e32 v48, v49, v47
	v_mul_f32_e32 v49, v49, v45
	v_fmac_f32_e32 v48, v58, v60
	v_fmac_f32_e32 v49, v58, v59
	v_mul_f32_e32 v58, v55, v0
	v_fmac_f32_e32 v57, v50, v44
	v_fmac_f32_e32 v48, v50, v46
	;; [unrolled: 1-line block ×4, first 2 shown]
	v_mul_f32_e32 v50, v51, v47
	v_mul_f32_e32 v51, v51, v45
	v_fmac_f32_e32 v50, v55, v60
	v_fmac_f32_e32 v51, v55, v59
	v_mul_f32_e32 v55, v52, v0
	v_fmac_f32_e32 v58, v53, v44
	v_fmac_f32_e32 v50, v53, v46
	;; [unrolled: 1-line block ×4, first 2 shown]
	v_mul_f32_e32 v53, v54, v47
	v_mul_f32_e32 v54, v54, v45
	v_fmac_f32_e32 v53, v52, v60
	v_fmac_f32_e32 v54, v52, v59
	;; [unrolled: 1-line block ×5, first 2 shown]
	v_mul_f32_e32 v1, v58, v58
	v_mul_f32_e32 v61, v50, v50
	v_fmac_f32_e32 v1, v57, v57
	v_fmac_f32_e32 v61, v48, v48
	;; [unrolled: 1-line block ×4, first 2 shown]
	v_xor_b32_e32 v2, v0, v60
	v_cmp_lt_f32_e64 s[0:1], v1, v61
	v_cndmask_b32_e64 v63, 0, v2, s[0:1]
	v_mul_f32_e32 v62, v51, v51
	v_xor_b32_e32 v3, v63, v0
	v_xor_b32_e32 v0, v1, v61
	v_fmac_f32_e32 v62, v49, v49
	v_cndmask_b32_e64 v2, 0, v0, s[0:1]
	v_fmac_f32_e32 v62, v54, v54
	v_xor_b32_e32 v1, v2, v1
	v_xor_b32_e32 v0, v3, v59
	v_cmp_gt_f32_e64 s[2:3], v62, v1
	v_cndmask_b32_e64 v0, 0, v0, s[2:3]
	v_xor_b32_e32 v3, v0, v3
	v_cndmask_b32_e64 v52, 1.0, -1.0, s[2:3]
	v_mul_f32_e32 v3, v52, v3
	global_store_dword v[40:41], v3, off
	v_xor_b32_e32 v40, v63, v60
	v_cndmask_b32_e64 v4, 1.0, -1.0, s[0:1]
	v_xor_b32_e32 v2, v2, v61
	v_cndmask_b32_e64 v3, v62, v1, s[2:3]
	v_xor_b32_e32 v1, v0, v59
	v_mul_f32_e32 v40, v4, v40
	v_xor_b32_e32 v41, v1, v40
	v_cmp_gt_f32_e64 s[4:5], v3, v2
	v_cndmask_b32_e64 v2, 0, v41, s[4:5]
	v_xor_b32_e32 v3, v2, v40
	v_xor_b32_e32 v2, v2, v1
	v_cndmask_b32_e64 v1, 1.0, -1.0, s[4:5]
	v_mul_f32_e32 v2, v1, v2
	global_store_dword v[34:35], v3, off
	global_store_dword v[36:37], v2, off
	v_xor_b32_e32 v2, v47, v56
	v_cndmask_b32_e64 v3, 0, v2, s[0:1]
	v_xor_b32_e32 v34, v3, v56
	v_xor_b32_e32 v2, v34, v45
	v_cndmask_b32_e64 v2, 0, v2, s[2:3]
	v_xor_b32_e32 v34, v2, v34
	v_mul_f32_e32 v34, v52, v34
	global_store_dword v[38:39], v34, off
	v_xor_b32_e32 v34, v58, v50
	v_cndmask_b32_e64 v37, 0, v34, s[0:1]
	v_xor_b32_e32 v34, v37, v58
	v_xor_b32_e32 v35, v34, v51
	v_cndmask_b32_e64 v38, 0, v35, s[2:3]
	v_xor_b32_e32 v35, v57, v48
	v_cndmask_b32_e64 v40, 0, v35, s[0:1]
	v_xor_b32_e32 v34, v38, v34
	v_xor_b32_e32 v35, v40, v57
	v_mul_f32_e32 v36, v52, v34
	v_xor_b32_e32 v39, v35, v49
	v_mul_f32_e32 v34, v36, v36
	v_cndmask_b32_e64 v41, 0, v39, s[2:3]
	v_xor_b32_e32 v35, v41, v35
	v_cmp_le_f32_e32 vcc, s9, v34
	v_mul_f32_e32 v39, v52, v35
	v_fma_f32 v35, -v52, v35, 0
	v_cndmask_b32_e32 v34, 0, v36, vcc
	v_max3_f32 v35, v35, v39, s9
	v_mul_f32_e32 v56, v34, v34
	v_fmac_f32_e32 v56, v35, v35
	v_mul_f32_e32 v57, 0x4f800000, v56
	v_cmp_gt_f32_e32 vcc, s8, v56
	v_cndmask_b32_e32 v57, v56, v57, vcc
	v_sqrt_f32_e32 v58, v57
	v_xor_b32_e32 v37, v37, v50
	v_xor_b32_e32 v40, v40, v48
	;; [unrolled: 1-line block ×3, first 2 shown]
	v_add_u32_e32 v59, -1, v58
	v_fma_f32 v60, -v59, v58, v57
	v_cmp_ge_f32_e64 s[6:7], 0, v60
	v_add_u32_e32 v60, 1, v58
	v_cndmask_b32_e64 v59, v58, v59, s[6:7]
	v_fma_f32 v58, -v60, v58, v57
	v_cmp_lt_f32_e64 s[6:7], 0, v58
	v_cndmask_b32_e64 v58, v59, v60, s[6:7]
	v_mul_f32_e32 v59, 0x37800000, v58
	v_cndmask_b32_e32 v58, v58, v59, vcc
	v_cmp_class_f32_e32 vcc, v57, v43
	v_cndmask_b32_e32 v57, v58, v57, vcc
	v_div_scale_f32 v58, s[6:7], v57, v57, 1.0
	v_xor_b32_e32 v49, v38, v51
	v_mul_f32_e32 v37, v4, v37
	v_mul_f32_e32 v38, v4, v40
	v_xor_b32_e32 v51, v49, v37
	v_xor_b32_e32 v40, v41, v38
	v_cndmask_b32_e64 v51, 0, v51, s[4:5]
	v_cndmask_b32_e64 v40, 0, v40, s[4:5]
	v_xor_b32_e32 v37, v51, v37
	v_xor_b32_e32 v38, v40, v38
	;; [unrolled: 1-line block ×4, first 2 shown]
	v_cndmask_b32_e64 v47, 0, v47, s[0:1]
	v_xor_b32_e32 v44, v47, v44
	v_xor_b32_e32 v2, v2, v45
	v_rcp_f32_e32 v59, v58
	v_xor_b32_e32 v45, v44, v42
	v_mul_f32_e32 v3, v4, v3
	v_cndmask_b32_e64 v45, 0, v45, s[2:3]
	v_fma_f32 v60, -v58, v59, 1.0
	v_fmac_f32_e32 v59, v60, v59
	v_div_scale_f32 v60, vcc, 1.0, v57, 1.0
	v_xor_b32_e32 v46, v47, v46
	v_xor_b32_e32 v44, v45, v44
	;; [unrolled: 1-line block ×4, first 2 shown]
	v_cndmask_b32_e64 v45, 0, v45, s[4:5]
	v_xor_b32_e32 v3, v45, v3
	v_xor_b32_e32 v2, v45, v2
	;; [unrolled: 1-line block ×4, first 2 shown]
	v_mul_f32_e32 v44, v52, v44
	v_mul_f32_e32 v2, v1, v2
	;; [unrolled: 1-line block ×3, first 2 shown]
	v_fma_f32 v62, -v58, v61, v60
	v_fmac_f32_e32 v61, v62, v59
	v_fma_f32 v58, -v58, v61, v60
	v_div_fmas_f32 v58, v58, v59, v61
	v_cmp_le_f32_e32 vcc, 0, v39
	v_div_fixup_f32 v57, v58, v57, 1.0
	v_mul_f32_e32 v58, 0.5, v57
	v_mul_f32_e32 v58, v57, v58
	v_mul_f32_e32 v58, v57, v58
	v_fmac_f32_e32 v57, 0.5, v57
	v_fma_f32 v57, -v56, v58, v57
	v_fmac_f32_e32 v35, v56, v57
	v_cndmask_b32_e32 v56, v34, v35, vcc
	v_cndmask_b32_e32 v34, v35, v34, vcc
	v_mul_f32_e32 v35, v34, v34
	v_fmac_f32_e32 v35, v56, v56
	v_mul_f32_e32 v57, 0x4f800000, v35
	v_cmp_gt_f32_e32 vcc, s8, v35
	v_cndmask_b32_e32 v57, v35, v57, vcc
	v_sqrt_f32_e32 v58, v57
	v_add_u32_e32 v59, -1, v58
	v_fma_f32 v60, -v59, v58, v57
	v_cmp_ge_f32_e64 s[6:7], 0, v60
	v_add_u32_e32 v60, 1, v58
	v_cndmask_b32_e64 v59, v58, v59, s[6:7]
	v_fma_f32 v58, -v60, v58, v57
	v_cmp_lt_f32_e64 s[6:7], 0, v58
	v_cndmask_b32_e64 v58, v59, v60, s[6:7]
	v_mul_f32_e32 v59, 0x37800000, v58
	v_cndmask_b32_e32 v58, v58, v59, vcc
	v_cmp_class_f32_e32 vcc, v57, v43
	v_cndmask_b32_e32 v57, v58, v57, vcc
	v_div_scale_f32 v58, s[6:7], v57, v57, 1.0
	v_rcp_f32_e32 v59, v58
	v_fma_f32 v60, -v58, v59, 1.0
	v_fmac_f32_e32 v59, v60, v59
	v_div_scale_f32 v60, vcc, 1.0, v57, 1.0
	v_mul_f32_e32 v61, v60, v59
	v_fma_f32 v62, -v58, v61, v60
	v_fmac_f32_e32 v61, v62, v59
	v_fma_f32 v58, -v58, v61, v60
	v_div_fmas_f32 v58, v58, v59, v61
	v_div_fixup_f32 v57, v58, v57, 1.0
	v_mul_f32_e32 v58, 0.5, v57
	v_mul_f32_e32 v58, v57, v58
	v_mul_f32_e32 v58, v57, v58
	v_fmac_f32_e32 v57, 0.5, v57
	v_fma_f32 v35, -v35, v58, v57
	v_mul_f32_e32 v56, v56, v35
	v_mul_f32_e32 v35, v34, v35
	;; [unrolled: 1-line block ×4, first 2 shown]
	v_add_f32_e32 v35, v35, v35
	v_fma_f32 v34, v56, v56, -v34
	v_mul_f32_e32 v36, v36, v35
	v_fmac_f32_e32 v36, v39, v34
	v_xor_b32_e32 v39, v55, v53
	v_cndmask_b32_e64 v56, 0, v39, s[0:1]
	v_xor_b32_e32 v39, v56, v55
	v_xor_b32_e32 v55, v39, v54
	v_cndmask_b32_e64 v55, 0, v55, s[2:3]
	v_xor_b32_e32 v39, v55, v39
	v_mul_f32_e32 v39, v52, v39
	v_mul_f32_e32 v57, v39, v39
	v_cmp_le_f32_e32 vcc, s9, v57
	v_max3_f32 v58, -v36, v36, s9
	v_cndmask_b32_e32 v57, 0, v39, vcc
	v_mul_f32_e32 v59, v58, v58
	v_fmac_f32_e32 v59, v57, v57
	v_mul_f32_e32 v60, 0x4f800000, v59
	v_cmp_gt_f32_e32 vcc, s8, v59
	v_cndmask_b32_e32 v60, v59, v60, vcc
	v_sqrt_f32_e32 v61, v60
	v_xor_b32_e32 v48, v56, v53
	v_mul_f32_e32 v53, v35, v37
	v_fmac_f32_e32 v53, v34, v38
	v_add_u32_e32 v62, -1, v61
	v_fma_f32 v63, -v62, v61, v60
	v_cmp_ge_f32_e64 s[6:7], 0, v63
	v_add_u32_e32 v63, 1, v61
	v_cndmask_b32_e64 v62, v61, v62, s[6:7]
	v_fma_f32 v61, -v63, v61, v60
	v_cmp_lt_f32_e64 s[6:7], 0, v61
	v_cndmask_b32_e64 v61, v62, v63, s[6:7]
	v_mul_f32_e32 v62, 0x37800000, v61
	v_cndmask_b32_e32 v61, v61, v62, vcc
	v_cmp_class_f32_e32 vcc, v60, v43
	v_cndmask_b32_e32 v60, v61, v60, vcc
	v_div_scale_f32 v61, s[6:7], v60, v60, 1.0
	v_mul_f32_e32 v38, v35, v38
	v_fma_f32 v37, v34, v37, -v38
	v_xor_b32_e32 v50, v55, v54
	v_mul_f32_e32 v49, 0, v35
	v_fma_f32 v51, v34, 0, -v35
	v_rcp_f32_e32 v62, v61
	v_fma_f32 v63, -v61, v62, 1.0
	v_fmac_f32_e32 v62, v63, v62
	v_div_scale_f32 v63, vcc, 1.0, v60, 1.0
	v_mul_f32_e32 v0, v63, v62
	v_fma_f32 v5, -v61, v0, v63
	v_fmac_f32_e32 v0, v5, v62
	v_fma_f32 v5, -v61, v0, v63
	v_div_fmas_f32 v0, v5, v62, v0
	v_cmp_le_f32_e32 vcc, 0, v36
	v_div_fixup_f32 v0, v0, v60, 1.0
	v_mul_f32_e32 v5, 0.5, v0
	v_mul_f32_e32 v5, v0, v5
	v_mul_f32_e32 v5, v0, v5
	v_fmac_f32_e32 v0, 0.5, v0
	v_fma_f32 v0, -v59, v5, v0
	v_fmac_f32_e32 v58, v59, v0
	v_cndmask_b32_e32 v5, v58, v57, vcc
	v_cndmask_b32_e32 v0, v57, v58, vcc
	v_mul_f32_e32 v57, v5, v5
	v_fmac_f32_e32 v57, v0, v0
	v_mul_f32_e32 v58, 0x4f800000, v57
	v_cmp_gt_f32_e32 vcc, s8, v57
	v_cndmask_b32_e32 v58, v57, v58, vcc
	v_sqrt_f32_e32 v59, v58
	v_add_u32_e32 v60, -1, v59
	v_fma_f32 v61, -v60, v59, v58
	v_cmp_ge_f32_e64 s[6:7], 0, v61
	v_add_u32_e32 v61, 1, v59
	v_cndmask_b32_e64 v60, v59, v60, s[6:7]
	v_fma_f32 v59, -v61, v59, v58
	v_cmp_lt_f32_e64 s[6:7], 0, v59
	v_cndmask_b32_e64 v59, v60, v61, s[6:7]
	v_mul_f32_e32 v60, 0x37800000, v59
	v_cndmask_b32_e32 v59, v59, v60, vcc
	v_cmp_class_f32_e32 vcc, v58, v43
	v_cndmask_b32_e32 v58, v59, v58, vcc
	v_div_scale_f32 v59, s[6:7], v58, v58, 1.0
	v_rcp_f32_e32 v60, v59
	v_fma_f32 v61, -v59, v60, 1.0
	v_fmac_f32_e32 v60, v61, v60
	v_div_scale_f32 v61, vcc, 1.0, v58, 1.0
	v_mul_f32_e32 v62, v61, v60
	v_fma_f32 v63, -v59, v62, v61
	v_fmac_f32_e32 v62, v63, v60
	v_fma_f32 v59, -v59, v62, v61
	v_div_fmas_f32 v59, v59, v60, v62
	v_div_fixup_f32 v58, v59, v58, 1.0
	v_mul_f32_e32 v59, 0.5, v58
	v_mul_f32_e32 v59, v58, v59
	v_mul_f32_e32 v59, v58, v59
	v_fmac_f32_e32 v58, 0.5, v58
	v_fma_f32 v57, -v57, v59, v58
	v_mul_f32_e32 v5, v5, v57
	v_mul_f32_e32 v0, v0, v57
	;; [unrolled: 1-line block ×3, first 2 shown]
	v_fma_f32 v54, v0, v0, -v38
	v_mul_f32_e32 v0, v5, v0
	v_mul_f32_e32 v5, v4, v48
	v_xor_b32_e32 v38, v50, v5
	v_cndmask_b32_e64 v48, 0, v38, s[4:5]
	v_add_f32_e32 v0, v0, v0
	v_xor_b32_e32 v5, v48, v5
	v_mul_f32_e32 v38, v53, v0
	v_fma_f32 v38, v54, v5, -v38
	v_mul_f32_e32 v5, v38, v38
	v_cmp_le_f32_e32 vcc, s9, v5
	v_cndmask_b32_e32 v5, 0, v38, vcc
	v_max3_f32 v53, -v37, v37, s9
	v_mul_f32_e32 v55, v5, v5
	v_fmac_f32_e32 v55, v53, v53
	v_mul_f32_e32 v56, 0x4f800000, v55
	v_cmp_gt_f32_e32 vcc, s8, v55
	v_cndmask_b32_e32 v56, v55, v56, vcc
	v_sqrt_f32_e32 v57, v56
	v_mul_f32_e32 v4, v4, v46
	v_xor_b32_e32 v45, v42, v4
	v_cndmask_b32_e64 v45, 0, v45, s[4:5]
	v_add_u32_e32 v58, -1, v57
	v_fma_f32 v59, -v58, v57, v56
	v_cmp_ge_f32_e64 s[6:7], 0, v59
	v_add_u32_e32 v59, 1, v57
	v_cndmask_b32_e64 v58, v57, v58, s[6:7]
	v_fma_f32 v57, -v59, v57, v56
	v_cmp_lt_f32_e64 s[6:7], 0, v57
	v_cndmask_b32_e64 v57, v58, v59, s[6:7]
	v_mul_f32_e32 v58, 0x37800000, v57
	v_cndmask_b32_e32 v57, v57, v58, vcc
	v_cmp_class_f32_e32 vcc, v56, v43
	v_cndmask_b32_e32 v56, v57, v56, vcc
	v_div_scale_f32 v57, s[6:7], v56, v56, 1.0
	v_xor_b32_e32 v48, v48, v50
	v_mul_f32_e32 v39, v39, v0
	v_fma_f32 v50, 0, v35, v34
	v_xor_b32_e32 v42, v45, v42
	v_fmac_f32_e32 v39, v36, v54
	v_mul_f32_e32 v36, v1, v40
	v_mul_f32_e32 v40, v1, v41
	;; [unrolled: 1-line block ×3, first 2 shown]
	v_xor_b32_e32 v4, v45, v4
	v_mul_f32_e32 v1, v1, v42
	v_mul_f32_e32 v48, v40, v35
	v_fmac_f32_e32 v48, v36, v34
	v_mul_f32_e32 v48, v48, v0
	v_fma_f32 v41, v41, v54, -v48
	v_rcp_f32_e32 v58, v57
	v_mov_b32_e32 v48, v34
	v_mul_f32_e32 v36, v36, v35
	v_fmac_f32_e32 v48, 0x80000000, v35
	v_fma_f32 v59, -v57, v58, 1.0
	v_fmac_f32_e32 v58, v59, v58
	v_div_scale_f32 v59, vcc, 1.0, v56, 1.0
	v_fmac_f32_e32 v35, 0, v34
	v_fma_f32 v36, v40, v34, -v36
	v_mul_f32_e32 v60, v59, v58
	v_fma_f32 v61, -v57, v60, v59
	v_fmac_f32_e32 v60, v61, v58
	v_fma_f32 v57, -v57, v60, v59
	v_div_fmas_f32 v57, v57, v58, v60
	v_cmp_le_f32_e32 vcc, 0, v37
	v_div_fixup_f32 v56, v57, v56, 1.0
	v_mul_f32_e32 v57, 0.5, v56
	v_mul_f32_e32 v57, v56, v57
	v_mul_f32_e32 v57, v56, v57
	v_fmac_f32_e32 v56, 0.5, v56
	v_fma_f32 v56, -v55, v57, v56
	v_fmac_f32_e32 v53, v55, v56
	v_cndmask_b32_e32 v55, v5, v53, vcc
	v_cndmask_b32_e32 v5, v53, v5, vcc
	v_mul_f32_e32 v53, v5, v5
	v_fmac_f32_e32 v53, v55, v55
	v_mul_f32_e32 v56, 0x4f800000, v53
	v_cmp_gt_f32_e32 vcc, s8, v53
	v_cndmask_b32_e32 v56, v53, v56, vcc
	v_sqrt_f32_e32 v57, v56
	v_add_u32_e32 v58, -1, v57
	v_fma_f32 v59, -v58, v57, v56
	v_cmp_ge_f32_e64 s[6:7], 0, v59
	v_add_u32_e32 v59, 1, v57
	v_cndmask_b32_e64 v58, v57, v58, s[6:7]
	v_fma_f32 v57, -v59, v57, v56
	v_cmp_lt_f32_e64 s[6:7], 0, v57
	v_cndmask_b32_e64 v57, v58, v59, s[6:7]
	v_mul_f32_e32 v58, 0x37800000, v57
	v_cndmask_b32_e32 v57, v57, v58, vcc
	v_cmp_class_f32_e32 vcc, v56, v43
	v_cndmask_b32_e32 v43, v57, v56, vcc
	v_div_scale_f32 v56, s[6:7], v43, v43, 1.0
	v_rcp_f32_e32 v57, v56
	v_fma_f32 v58, -v56, v57, 1.0
	v_fmac_f32_e32 v57, v58, v57
	v_div_scale_f32 v58, vcc, 1.0, v43, 1.0
	v_mul_f32_e32 v59, v58, v57
	v_fma_f32 v60, -v56, v59, v58
	v_fmac_f32_e32 v59, v60, v57
	v_fma_f32 v56, -v56, v59, v58
	v_div_fmas_f32 v56, v56, v57, v59
	v_mul_f32_e32 v57, 0, v0
	v_fma_f32 v59, v50, v54, v57
	global_store_dword v[24:25], v3, off
	global_store_dword v[26:27], v2, off
	;; [unrolled: 1-line block ×6, first 2 shown]
	buffer_load_dword v1, off, s[12:15], 0  ; 4-byte Folded Reload
	s_nop 0
	buffer_load_dword v2, off, s[12:15], 0 offset:4 ; 4-byte Folded Reload
	v_mul_f32_e32 v58, 0, v54
	v_fma_f32 v50, -v50, v0, v58
	v_fmac_f32_e32 v57, v35, v54
	v_fma_f32 v35, -v35, v0, v58
	v_fma_f32 v58, 0, v34, v49
	v_fma_f32 v60, v58, v54, v0
	v_fma_f32 v0, -v58, v0, v54
	v_fma_f32 v34, v34, 0, -v49
	v_div_fixup_f32 v43, v56, v43, 1.0
	v_mul_f32_e32 v54, 0.5, v43
	v_mul_f32_e32 v54, v43, v54
	v_mul_f32_e32 v54, v43, v54
	v_fmac_f32_e32 v43, 0.5, v43
	v_fma_f32 v43, -v53, v54, v43
	v_mul_f32_e32 v40, v55, v43
	v_mul_f32_e32 v5, v5, v43
	;; [unrolled: 1-line block ×4, first 2 shown]
	v_add_f32_e32 v5, v5, v5
	v_fma_f32 v42, v40, v40, -v42
	v_mul_f32_e32 v38, v38, v5
	v_fmac_f32_e32 v38, v37, v42
	v_mul_f32_e32 v37, v50, v5
	v_fmac_f32_e32 v37, v51, v42
	v_mul_f32_e32 v40, v51, v5
	v_fma_f32 v40, v50, v42, -v40
	s_waitcnt vmcnt(0)
	global_store_dword v[1:2], v37, off
	global_store_dword v[10:11], v40, off
	buffer_load_dword v1, off, s[12:15], 0 offset:8 ; 4-byte Folded Reload
	s_nop 0
	buffer_load_dword v2, off, s[12:15], 0 offset:12 ; 4-byte Folded Reload
	v_mul_f32_e32 v36, v36, v5
	v_fma_f32 v36, v41, v42, -v36
	v_mul_f32_e32 v41, v35, v5
	v_fmac_f32_e32 v41, v48, v42
	s_waitcnt vmcnt(0)
	global_store_dword v[1:2], v57, off
	global_store_dword v[12:13], v41, off
	buffer_load_dword v1, off, s[12:15], 0 offset:16 ; 4-byte Folded Reload
	s_nop 0
	buffer_load_dword v2, off, s[12:15], 0 offset:20 ; 4-byte Folded Reload
	v_mul_f32_e32 v43, v48, v5
	v_fma_f32 v35, v35, v42, -v43
	v_mul_f32_e32 v43, v34, v5
	v_mul_f32_e32 v5, v0, v5
	v_fmac_f32_e32 v5, v34, v42
	v_fma_f32 v0, v0, v42, -v43
	s_waitcnt vmcnt(0)
	global_store_dword v[1:2], v35, off
	global_store_dword v[14:15], v60, off
	;; [unrolled: 1-line block ×7, first 2 shown]
.LBB0_4:
	s_endpgm
	.section	.rodata,"a",@progbits
	.p2align	6, 0x0
	.amdhsa_kernel _Z8svd3_SOAPKfPfi
		.amdhsa_group_segment_fixed_size 0
		.amdhsa_private_segment_fixed_size 28
		.amdhsa_kernarg_size 280
		.amdhsa_user_sgpr_count 6
		.amdhsa_user_sgpr_private_segment_buffer 1
		.amdhsa_user_sgpr_dispatch_ptr 0
		.amdhsa_user_sgpr_queue_ptr 0
		.amdhsa_user_sgpr_kernarg_segment_ptr 1
		.amdhsa_user_sgpr_dispatch_id 0
		.amdhsa_user_sgpr_flat_scratch_init 0
		.amdhsa_user_sgpr_private_segment_size 0
		.amdhsa_uses_dynamic_stack 0
		.amdhsa_system_sgpr_private_segment_wavefront_offset 1
		.amdhsa_system_sgpr_workgroup_id_x 1
		.amdhsa_system_sgpr_workgroup_id_y 0
		.amdhsa_system_sgpr_workgroup_id_z 0
		.amdhsa_system_sgpr_workgroup_info 0
		.amdhsa_system_vgpr_workitem_id 0
		.amdhsa_next_free_vgpr 64
		.amdhsa_next_free_sgpr 16
		.amdhsa_reserve_vcc 1
		.amdhsa_reserve_flat_scratch 0
		.amdhsa_float_round_mode_32 0
		.amdhsa_float_round_mode_16_64 0
		.amdhsa_float_denorm_mode_32 3
		.amdhsa_float_denorm_mode_16_64 3
		.amdhsa_dx10_clamp 1
		.amdhsa_ieee_mode 1
		.amdhsa_fp16_overflow 0
		.amdhsa_exception_fp_ieee_invalid_op 0
		.amdhsa_exception_fp_denorm_src 0
		.amdhsa_exception_fp_ieee_div_zero 0
		.amdhsa_exception_fp_ieee_overflow 0
		.amdhsa_exception_fp_ieee_underflow 0
		.amdhsa_exception_fp_ieee_inexact 0
		.amdhsa_exception_int_div_zero 0
	.end_amdhsa_kernel
	.text
.Lfunc_end0:
	.size	_Z8svd3_SOAPKfPfi, .Lfunc_end0-_Z8svd3_SOAPKfPfi
                                        ; -- End function
	.set _Z8svd3_SOAPKfPfi.num_vgpr, 64
	.set _Z8svd3_SOAPKfPfi.num_agpr, 0
	.set _Z8svd3_SOAPKfPfi.numbered_sgpr, 16
	.set _Z8svd3_SOAPKfPfi.num_named_barrier, 0
	.set _Z8svd3_SOAPKfPfi.private_seg_size, 28
	.set _Z8svd3_SOAPKfPfi.uses_vcc, 1
	.set _Z8svd3_SOAPKfPfi.uses_flat_scratch, 0
	.set _Z8svd3_SOAPKfPfi.has_dyn_sized_stack, 0
	.set _Z8svd3_SOAPKfPfi.has_recursion, 0
	.set _Z8svd3_SOAPKfPfi.has_indirect_call, 0
	.section	.AMDGPU.csdata,"",@progbits
; Kernel info:
; codeLenInByte = 5156
; TotalNumSgprs: 20
; NumVgprs: 64
; ScratchSize: 28
; MemoryBound: 0
; FloatMode: 240
; IeeeMode: 1
; LDSByteSize: 0 bytes/workgroup (compile time only)
; SGPRBlocks: 2
; VGPRBlocks: 15
; NumSGPRsForWavesPerEU: 20
; NumVGPRsForWavesPerEU: 64
; Occupancy: 4
; WaveLimiterHint : 0
; COMPUTE_PGM_RSRC2:SCRATCH_EN: 1
; COMPUTE_PGM_RSRC2:USER_SGPR: 6
; COMPUTE_PGM_RSRC2:TRAP_HANDLER: 0
; COMPUTE_PGM_RSRC2:TGID_X_EN: 1
; COMPUTE_PGM_RSRC2:TGID_Y_EN: 0
; COMPUTE_PGM_RSRC2:TGID_Z_EN: 0
; COMPUTE_PGM_RSRC2:TIDIG_COMP_CNT: 0
	.section	.AMDGPU.gpr_maximums,"",@progbits
	.set amdgpu.max_num_vgpr, 0
	.set amdgpu.max_num_agpr, 0
	.set amdgpu.max_num_sgpr, 0
	.section	.AMDGPU.csdata,"",@progbits
	.type	__hip_cuid_e22396a4e91f68b,@object ; @__hip_cuid_e22396a4e91f68b
	.section	.bss,"aw",@nobits
	.globl	__hip_cuid_e22396a4e91f68b
__hip_cuid_e22396a4e91f68b:
	.byte	0                               ; 0x0
	.size	__hip_cuid_e22396a4e91f68b, 1

	.ident	"AMD clang version 22.0.0git (https://github.com/RadeonOpenCompute/llvm-project roc-7.2.4 26084 f58b06dce1f9c15707c5f808fd002e18c2accf7e)"
	.section	".note.GNU-stack","",@progbits
	.addrsig
	.addrsig_sym __hip_cuid_e22396a4e91f68b
	.amdgpu_metadata
---
amdhsa.kernels:
  - .args:
      - .actual_access:  read_only
        .address_space:  global
        .offset:         0
        .size:           8
        .value_kind:     global_buffer
      - .actual_access:  write_only
        .address_space:  global
        .offset:         8
        .size:           8
        .value_kind:     global_buffer
      - .offset:         16
        .size:           4
        .value_kind:     by_value
      - .offset:         24
        .size:           4
        .value_kind:     hidden_block_count_x
      - .offset:         28
        .size:           4
        .value_kind:     hidden_block_count_y
      - .offset:         32
        .size:           4
        .value_kind:     hidden_block_count_z
      - .offset:         36
        .size:           2
        .value_kind:     hidden_group_size_x
      - .offset:         38
        .size:           2
        .value_kind:     hidden_group_size_y
      - .offset:         40
        .size:           2
        .value_kind:     hidden_group_size_z
      - .offset:         42
        .size:           2
        .value_kind:     hidden_remainder_x
      - .offset:         44
        .size:           2
        .value_kind:     hidden_remainder_y
      - .offset:         46
        .size:           2
        .value_kind:     hidden_remainder_z
      - .offset:         64
        .size:           8
        .value_kind:     hidden_global_offset_x
      - .offset:         72
        .size:           8
        .value_kind:     hidden_global_offset_y
      - .offset:         80
        .size:           8
        .value_kind:     hidden_global_offset_z
      - .offset:         88
        .size:           2
        .value_kind:     hidden_grid_dims
    .group_segment_fixed_size: 0
    .kernarg_segment_align: 8
    .kernarg_segment_size: 280
    .language:       OpenCL C
    .language_version:
      - 2
      - 0
    .max_flat_workgroup_size: 1024
    .name:           _Z8svd3_SOAPKfPfi
    .private_segment_fixed_size: 28
    .sgpr_count:     20
    .sgpr_spill_count: 0
    .symbol:         _Z8svd3_SOAPKfPfi.kd
    .uniform_work_group_size: 1
    .uses_dynamic_stack: false
    .vgpr_count:     64
    .vgpr_spill_count: 6
    .wavefront_size: 64
amdhsa.target:   amdgcn-amd-amdhsa--gfx906
amdhsa.version:
  - 1
  - 2
...

	.end_amdgpu_metadata
